;; amdgpu-corpus repo=ROCm/rocFFT kind=compiled arch=gfx950 opt=O3
	.text
	.amdgcn_target "amdgcn-amd-amdhsa--gfx950"
	.amdhsa_code_object_version 6
	.protected	fft_rtc_back_len1100_factors_2_2_11_5_5_wgs_110_tpt_110_dp_op_CI_CI_unitstride_sbrr_R2C_dirReg ; -- Begin function fft_rtc_back_len1100_factors_2_2_11_5_5_wgs_110_tpt_110_dp_op_CI_CI_unitstride_sbrr_R2C_dirReg
	.globl	fft_rtc_back_len1100_factors_2_2_11_5_5_wgs_110_tpt_110_dp_op_CI_CI_unitstride_sbrr_R2C_dirReg
	.p2align	8
	.type	fft_rtc_back_len1100_factors_2_2_11_5_5_wgs_110_tpt_110_dp_op_CI_CI_unitstride_sbrr_R2C_dirReg,@function
fft_rtc_back_len1100_factors_2_2_11_5_5_wgs_110_tpt_110_dp_op_CI_CI_unitstride_sbrr_R2C_dirReg: ; @fft_rtc_back_len1100_factors_2_2_11_5_5_wgs_110_tpt_110_dp_op_CI_CI_unitstride_sbrr_R2C_dirReg
; %bb.0:
	s_load_dwordx4 s[4:7], s[0:1], 0x58
	s_load_dwordx4 s[8:11], s[0:1], 0x0
	;; [unrolled: 1-line block ×3, first 2 shown]
	v_mul_u32_u24_e32 v1, 0x254, v0
	v_add_u32_sdwa v6, s2, v1 dst_sel:DWORD dst_unused:UNUSED_PAD src0_sel:DWORD src1_sel:WORD_1
	v_mov_b32_e32 v4, 0
	s_waitcnt lgkmcnt(0)
	v_cmp_lt_u64_e64 s[2:3], s[10:11], 2
	v_mov_b32_e32 v7, v4
	s_and_b64 vcc, exec, s[2:3]
	v_mov_b64_e32 v[2:3], 0
	s_cbranch_vccnz .LBB0_8
; %bb.1:
	s_load_dwordx2 s[2:3], s[0:1], 0x10
	s_add_u32 s16, s14, 8
	s_addc_u32 s17, s15, 0
	s_add_u32 s18, s12, 8
	s_addc_u32 s19, s13, 0
	s_waitcnt lgkmcnt(0)
	s_add_u32 s20, s2, 8
	v_mov_b64_e32 v[2:3], 0
	s_addc_u32 s21, s3, 0
	s_mov_b64 s[22:23], 1
	v_mov_b64_e32 v[44:45], v[2:3]
.LBB0_2:                                ; =>This Inner Loop Header: Depth=1
	s_load_dwordx2 s[24:25], s[20:21], 0x0
                                        ; implicit-def: $vgpr46_vgpr47
	s_waitcnt lgkmcnt(0)
	v_or_b32_e32 v5, s25, v7
	v_cmp_ne_u64_e32 vcc, 0, v[4:5]
	s_and_saveexec_b64 s[2:3], vcc
	s_xor_b64 s[26:27], exec, s[2:3]
	s_cbranch_execz .LBB0_4
; %bb.3:                                ;   in Loop: Header=BB0_2 Depth=1
	v_cvt_f32_u32_e32 v1, s24
	v_cvt_f32_u32_e32 v5, s25
	s_sub_u32 s2, 0, s24
	s_subb_u32 s3, 0, s25
	v_fmac_f32_e32 v1, 0x4f800000, v5
	v_rcp_f32_e32 v1, v1
	s_nop 0
	v_mul_f32_e32 v1, 0x5f7ffffc, v1
	v_mul_f32_e32 v5, 0x2f800000, v1
	v_trunc_f32_e32 v5, v5
	v_fmac_f32_e32 v1, 0xcf800000, v5
	v_cvt_u32_f32_e32 v5, v5
	v_cvt_u32_f32_e32 v1, v1
	v_mul_lo_u32 v8, s2, v5
	v_mul_hi_u32 v10, s2, v1
	v_mul_lo_u32 v9, s3, v1
	v_add_u32_e32 v10, v10, v8
	v_mul_lo_u32 v12, s2, v1
	v_add_u32_e32 v13, v10, v9
	v_mul_hi_u32 v8, v1, v12
	v_mul_hi_u32 v11, v1, v13
	v_mul_lo_u32 v10, v1, v13
	v_mov_b32_e32 v9, v4
	v_lshl_add_u64 v[8:9], v[8:9], 0, v[10:11]
	v_mul_hi_u32 v11, v5, v12
	v_mul_lo_u32 v12, v5, v12
	v_add_co_u32_e32 v8, vcc, v8, v12
	v_mul_hi_u32 v10, v5, v13
	s_nop 0
	v_addc_co_u32_e32 v8, vcc, v9, v11, vcc
	v_mov_b32_e32 v9, v4
	s_nop 0
	v_addc_co_u32_e32 v11, vcc, 0, v10, vcc
	v_mul_lo_u32 v10, v5, v13
	v_lshl_add_u64 v[8:9], v[8:9], 0, v[10:11]
	v_add_co_u32_e32 v1, vcc, v1, v8
	v_mul_lo_u32 v10, s2, v1
	s_nop 0
	v_addc_co_u32_e32 v5, vcc, v5, v9, vcc
	v_mul_lo_u32 v8, s2, v5
	v_mul_hi_u32 v9, s2, v1
	v_add_u32_e32 v8, v9, v8
	v_mul_lo_u32 v9, s3, v1
	v_add_u32_e32 v12, v8, v9
	v_mul_hi_u32 v14, v5, v10
	v_mul_lo_u32 v15, v5, v10
	v_mul_hi_u32 v9, v1, v12
	v_mul_lo_u32 v8, v1, v12
	v_mul_hi_u32 v10, v1, v10
	v_mov_b32_e32 v11, v4
	v_lshl_add_u64 v[8:9], v[10:11], 0, v[8:9]
	v_add_co_u32_e32 v8, vcc, v8, v15
	v_mul_hi_u32 v13, v5, v12
	s_nop 0
	v_addc_co_u32_e32 v8, vcc, v9, v14, vcc
	v_mul_lo_u32 v10, v5, v12
	s_nop 0
	v_addc_co_u32_e32 v11, vcc, 0, v13, vcc
	v_mov_b32_e32 v9, v4
	v_lshl_add_u64 v[8:9], v[8:9], 0, v[10:11]
	v_add_co_u32_e32 v1, vcc, v1, v8
	v_mul_hi_u32 v10, v6, v1
	s_nop 0
	v_addc_co_u32_e32 v5, vcc, v5, v9, vcc
	v_mad_u64_u32 v[8:9], s[2:3], v6, v5, 0
	v_mov_b32_e32 v11, v4
	v_lshl_add_u64 v[8:9], v[10:11], 0, v[8:9]
	v_mad_u64_u32 v[12:13], s[2:3], v7, v1, 0
	v_add_co_u32_e32 v1, vcc, v8, v12
	v_mad_u64_u32 v[10:11], s[2:3], v7, v5, 0
	s_nop 0
	v_addc_co_u32_e32 v8, vcc, v9, v13, vcc
	v_mov_b32_e32 v9, v4
	s_nop 0
	v_addc_co_u32_e32 v11, vcc, 0, v11, vcc
	v_lshl_add_u64 v[8:9], v[8:9], 0, v[10:11]
	v_mul_lo_u32 v1, s25, v8
	v_mul_lo_u32 v5, s24, v9
	v_mad_u64_u32 v[10:11], s[2:3], s24, v8, 0
	v_add3_u32 v1, v11, v5, v1
	v_sub_u32_e32 v5, v7, v1
	v_mov_b32_e32 v11, s25
	v_sub_co_u32_e32 v14, vcc, v6, v10
	v_lshl_add_u64 v[12:13], v[8:9], 0, 1
	s_nop 0
	v_subb_co_u32_e64 v5, s[2:3], v5, v11, vcc
	v_subrev_co_u32_e64 v10, s[2:3], s24, v14
	v_subb_co_u32_e32 v1, vcc, v7, v1, vcc
	s_nop 0
	v_subbrev_co_u32_e64 v5, s[2:3], 0, v5, s[2:3]
	v_cmp_le_u32_e64 s[2:3], s25, v5
	v_cmp_le_u32_e32 vcc, s25, v1
	s_nop 0
	v_cndmask_b32_e64 v11, 0, -1, s[2:3]
	v_cmp_le_u32_e64 s[2:3], s24, v10
	s_nop 1
	v_cndmask_b32_e64 v10, 0, -1, s[2:3]
	v_cmp_eq_u32_e64 s[2:3], s25, v5
	s_nop 1
	v_cndmask_b32_e64 v5, v11, v10, s[2:3]
	v_lshl_add_u64 v[10:11], v[8:9], 0, 2
	v_cmp_ne_u32_e64 s[2:3], 0, v5
	s_nop 1
	v_cndmask_b32_e64 v5, v13, v11, s[2:3]
	v_cndmask_b32_e64 v11, 0, -1, vcc
	v_cmp_le_u32_e32 vcc, s24, v14
	s_nop 1
	v_cndmask_b32_e64 v13, 0, -1, vcc
	v_cmp_eq_u32_e32 vcc, s25, v1
	s_nop 1
	v_cndmask_b32_e32 v1, v11, v13, vcc
	v_cmp_ne_u32_e32 vcc, 0, v1
	v_cndmask_b32_e64 v1, v12, v10, s[2:3]
	s_nop 0
	v_cndmask_b32_e32 v47, v9, v5, vcc
	v_cndmask_b32_e32 v46, v8, v1, vcc
.LBB0_4:                                ;   in Loop: Header=BB0_2 Depth=1
	s_andn2_saveexec_b64 s[2:3], s[26:27]
	s_cbranch_execz .LBB0_6
; %bb.5:                                ;   in Loop: Header=BB0_2 Depth=1
	v_cvt_f32_u32_e32 v1, s24
	s_sub_i32 s26, 0, s24
	v_mov_b32_e32 v47, v4
	v_rcp_iflag_f32_e32 v1, v1
	s_nop 0
	v_mul_f32_e32 v1, 0x4f7ffffe, v1
	v_cvt_u32_f32_e32 v1, v1
	v_mul_lo_u32 v5, s26, v1
	v_mul_hi_u32 v5, v1, v5
	v_add_u32_e32 v1, v1, v5
	v_mul_hi_u32 v1, v6, v1
	v_mul_lo_u32 v5, v1, s24
	v_sub_u32_e32 v5, v6, v5
	v_add_u32_e32 v8, 1, v1
	v_subrev_u32_e32 v9, s24, v5
	v_cmp_le_u32_e32 vcc, s24, v5
	s_nop 1
	v_cndmask_b32_e32 v5, v5, v9, vcc
	v_cndmask_b32_e32 v1, v1, v8, vcc
	v_add_u32_e32 v8, 1, v1
	v_cmp_le_u32_e32 vcc, s24, v5
	s_nop 1
	v_cndmask_b32_e32 v46, v1, v8, vcc
.LBB0_6:                                ;   in Loop: Header=BB0_2 Depth=1
	s_or_b64 exec, exec, s[2:3]
	v_mad_u64_u32 v[8:9], s[2:3], v46, s24, 0
	s_load_dwordx2 s[2:3], s[18:19], 0x0
	v_mul_lo_u32 v1, v47, s24
	v_mul_lo_u32 v5, v46, s25
	s_load_dwordx2 s[24:25], s[16:17], 0x0
	s_add_u32 s22, s22, 1
	v_add3_u32 v1, v9, v5, v1
	v_sub_co_u32_e32 v5, vcc, v6, v8
	s_addc_u32 s23, s23, 0
	s_nop 0
	v_subb_co_u32_e32 v1, vcc, v7, v1, vcc
	s_add_u32 s16, s16, 8
	s_waitcnt lgkmcnt(0)
	v_mul_lo_u32 v6, s2, v1
	v_mul_lo_u32 v7, s3, v5
	v_mad_u64_u32 v[2:3], s[2:3], s2, v5, v[2:3]
	s_addc_u32 s17, s17, 0
	v_add3_u32 v3, v7, v3, v6
	v_mul_lo_u32 v1, s24, v1
	v_mul_lo_u32 v6, s25, v5
	v_mad_u64_u32 v[44:45], s[2:3], s24, v5, v[44:45]
	s_add_u32 s18, s18, 8
	v_add3_u32 v45, v6, v45, v1
	s_addc_u32 s19, s19, 0
	v_mov_b64_e32 v[6:7], s[10:11]
	s_add_u32 s20, s20, 8
	v_cmp_ge_u64_e32 vcc, s[22:23], v[6:7]
	s_addc_u32 s21, s21, 0
	s_cbranch_vccnz .LBB0_9
; %bb.7:                                ;   in Loop: Header=BB0_2 Depth=1
	v_mov_b64_e32 v[6:7], v[46:47]
	s_branch .LBB0_2
.LBB0_8:
	v_mov_b64_e32 v[44:45], v[2:3]
	v_mov_b64_e32 v[46:47], v[6:7]
.LBB0_9:
	s_load_dwordx2 s[18:19], s[0:1], 0x28
	s_lshl_b64 s[16:17], s[10:11], 3
	s_add_u32 s2, s14, s16
	s_addc_u32 s3, s15, s17
                                        ; implicit-def: $vgpr48
                                        ; implicit-def: $vgpr50
                                        ; implicit-def: $vgpr56
                                        ; implicit-def: $vgpr54
                                        ; implicit-def: $vgpr52
	s_waitcnt lgkmcnt(0)
	v_cmp_gt_u64_e64 s[0:1], s[18:19], v[46:47]
	v_cmp_le_u64_e32 vcc, s[18:19], v[46:47]
	s_and_saveexec_b64 s[10:11], vcc
	s_xor_b64 s[10:11], exec, s[10:11]
; %bb.10:
	s_mov_b32 s14, 0x253c826
	v_mul_hi_u32 v1, v0, s14
	v_mul_u32_u24_e32 v1, 0x6e, v1
	v_sub_u32_e32 v48, v0, v1
	v_add_u32_e32 v50, 0x6e, v48
	v_add_u32_e32 v56, 0xdc, v48
	;; [unrolled: 1-line block ×4, first 2 shown]
                                        ; implicit-def: $vgpr0
                                        ; implicit-def: $vgpr2_vgpr3
; %bb.11:
	s_andn2_saveexec_b64 s[10:11], s[10:11]
	s_cbranch_execz .LBB0_13
; %bb.12:
	s_add_u32 s12, s12, s16
	s_addc_u32 s13, s13, s17
	s_load_dwordx2 s[12:13], s[12:13], 0x0
	s_mov_b32 s14, 0x253c826
	v_mov_b32_e32 v41, 0
	s_waitcnt lgkmcnt(0)
	v_mul_lo_u32 v1, s13, v46
	v_mul_lo_u32 v6, s12, v47
	v_mad_u64_u32 v[4:5], s[12:13], s12, v46, 0
	v_add3_u32 v5, v5, v6, v1
	v_mul_hi_u32 v1, v0, s14
	v_mul_u32_u24_e32 v1, 0x6e, v1
	v_sub_u32_e32 v48, v0, v1
	v_lshl_add_u64 v[0:1], v[4:5], 4, s[4:5]
	v_lshl_add_u64 v[0:1], v[2:3], 4, v[0:1]
	v_lshlrev_b32_e32 v40, 4, v48
	v_lshl_add_u64 v[24:25], v[0:1], 0, v[40:41]
	s_movk_i32 s4, 0x1000
	v_add_co_u32_e32 v26, vcc, s4, v24
	s_movk_i32 s4, 0x2000
	s_nop 0
	v_addc_co_u32_e32 v27, vcc, 0, v25, vcc
	v_add_co_u32_e32 v42, vcc, s4, v24
	global_load_dwordx4 v[0:3], v[24:25], off
	global_load_dwordx4 v[4:7], v[24:25], off offset:1760
	v_addc_co_u32_e32 v43, vcc, 0, v25, vcc
	v_add_co_u32_e32 v50, vcc, 0x3000, v24
	global_load_dwordx4 v[8:11], v[24:25], off offset:3520
	global_load_dwordx4 v[12:15], v[26:27], off offset:1184
	;; [unrolled: 1-line block ×4, first 2 shown]
	v_addc_co_u32_e32 v51, vcc, 0, v25, vcc
	global_load_dwordx4 v[24:27], v[42:43], off offset:2368
	global_load_dwordx4 v[28:31], v[50:51], off offset:32
	global_load_dwordx4 v[32:35], v[50:51], off offset:1792
	global_load_dwordx4 v[36:39], v[50:51], off offset:3552
	v_add_u32_e32 v50, 0x6e, v48
	v_add_u32_e32 v56, 0xdc, v48
	;; [unrolled: 1-line block ×5, first 2 shown]
	s_waitcnt vmcnt(9)
	ds_write_b128 v40, v[0:3]
	s_waitcnt vmcnt(8)
	ds_write_b128 v40, v[4:7] offset:1760
	s_waitcnt vmcnt(7)
	ds_write_b128 v40, v[8:11] offset:3520
	s_waitcnt vmcnt(6)
	ds_write_b128 v40, v[12:15] offset:5280
	s_waitcnt vmcnt(5)
	ds_write_b128 v40, v[16:19] offset:7040
	s_waitcnt vmcnt(4)
	ds_write_b128 v40, v[20:23] offset:8800
	s_waitcnt vmcnt(3)
	ds_write_b128 v40, v[24:27] offset:10560
	s_waitcnt vmcnt(2)
	ds_write_b128 v40, v[28:31] offset:12320
	s_waitcnt vmcnt(1)
	ds_write_b128 v40, v[32:35] offset:14080
	s_waitcnt vmcnt(0)
	ds_write_b128 v40, v[36:39] offset:15840
.LBB0_13:
	s_or_b64 exec, exec, s[10:11]
	v_lshlrev_b32_e32 v49, 4, v48
	v_add_u32_e32 v53, 0, v49
	s_load_dwordx2 s[2:3], s[2:3], 0x0
	s_waitcnt lgkmcnt(0)
	s_barrier
	ds_read_b128 v[0:3], v53 offset:8800
	ds_read_b128 v[4:7], v53
	ds_read_b128 v[8:11], v53 offset:1760
	ds_read_b128 v[12:15], v53 offset:10560
	;; [unrolled: 1-line block ×8, first 2 shown]
	s_waitcnt lgkmcnt(8)
	v_add_f64 v[0:1], v[4:5], -v[0:1]
	v_add_f64 v[2:3], v[6:7], -v[2:3]
	v_fma_f64 v[4:5], v[4:5], 2.0, -v[0:1]
	v_fma_f64 v[6:7], v[6:7], 2.0, -v[2:3]
	s_waitcnt lgkmcnt(6)
	v_add_f64 v[12:13], v[8:9], -v[12:13]
	v_add_f64 v[14:15], v[10:11], -v[14:15]
	s_waitcnt lgkmcnt(4)
	v_add_f64 v[16:17], v[20:21], -v[16:17]
	v_add_f64 v[18:19], v[22:23], -v[18:19]
	;; [unrolled: 3-line block ×4, first 2 shown]
	v_add_u32_e32 v40, v53, v49
	v_and_b32_e32 v70, 1, v48
	v_fma_f64 v[8:9], v[8:9], 2.0, -v[12:13]
	v_fma_f64 v[10:11], v[10:11], 2.0, -v[14:15]
	;; [unrolled: 1-line block ×8, first 2 shown]
	s_barrier
	ds_write_b128 v40, v[4:7]
	ds_write_b128 v40, v[0:3] offset:16
	v_lshl_add_u32 v55, v50, 5, 0
	v_lshl_add_u32 v57, v56, 5, 0
	;; [unrolled: 1-line block ×4, first 2 shown]
	v_lshlrev_b32_e32 v0, 4, v70
	ds_write_b128 v55, v[8:11]
	ds_write_b128 v55, v[12:15] offset:16
	ds_write_b128 v57, v[20:23]
	ds_write_b128 v57, v[16:19] offset:16
	;; [unrolled: 2-line block ×4, first 2 shown]
	s_waitcnt lgkmcnt(0)
	s_barrier
	global_load_dwordx4 v[0:3], v0, s[8:9]
	v_lshlrev_b32_e32 v58, 4, v50
	v_lshlrev_b32_e32 v59, 4, v56
	v_sub_u32_e32 v12, v55, v58
	v_sub_u32_e32 v13, v57, v59
	ds_read_b128 v[8:11], v53
	ds_read_b128 v[4:7], v53 offset:8800
	ds_read_b128 v[16:19], v12
	ds_read_b128 v[24:27], v13
	ds_read_b128 v[12:15], v53 offset:10560
	ds_read_b128 v[20:23], v53 offset:12320
	ds_read_b128 v[28:31], v53 offset:14080
	ds_read_b128 v[32:35], v53 offset:15840
	v_lshlrev_b32_e32 v51, 4, v54
	s_movk_i32 s4, 0xfc
	s_waitcnt vmcnt(0) lgkmcnt(6)
	v_mul_f64 v[36:37], v[6:7], v[2:3]
	s_waitcnt lgkmcnt(3)
	v_mul_f64 v[40:41], v[14:15], v[2:3]
	s_waitcnt lgkmcnt(2)
	v_mul_f64 v[60:61], v[22:23], v[2:3]
	v_fmac_f64_e32 v[36:37], v[4:5], v[0:1]
	v_fmac_f64_e32 v[40:41], v[12:13], v[0:1]
	;; [unrolled: 1-line block ×3, first 2 shown]
	v_mul_f64 v[38:39], v[4:5], v[2:3]
	v_mul_f64 v[42:43], v[12:13], v[2:3]
	;; [unrolled: 1-line block ×3, first 2 shown]
	s_waitcnt lgkmcnt(1)
	v_mul_f64 v[64:65], v[30:31], v[2:3]
	v_mul_f64 v[66:67], v[28:29], v[2:3]
	s_waitcnt lgkmcnt(0)
	v_mul_f64 v[68:69], v[34:35], v[2:3]
	v_mul_f64 v[2:3], v[32:33], v[2:3]
	v_add_f64 v[4:5], v[8:9], -v[36:37]
	v_add_f64 v[12:13], v[16:17], -v[40:41]
	;; [unrolled: 1-line block ×3, first 2 shown]
	v_lshlrev_b32_e32 v60, 4, v52
	v_fma_f64 v[6:7], v[6:7], v[0:1], -v[38:39]
	v_fma_f64 v[14:15], v[14:15], v[0:1], -v[42:43]
	;; [unrolled: 1-line block ×3, first 2 shown]
	v_fmac_f64_e32 v[64:65], v[28:29], v[0:1]
	v_fma_f64 v[30:31], v[30:31], v[0:1], -v[66:67]
	v_fmac_f64_e32 v[68:69], v[32:33], v[0:1]
	v_fma_f64 v[38:39], v[34:35], v[0:1], -v[2:3]
	v_sub_u32_e32 v28, v118, v51
	v_fma_f64 v[0:1], v[8:9], 2.0, -v[4:5]
	v_fma_f64 v[8:9], v[16:17], 2.0, -v[12:13]
	;; [unrolled: 1-line block ×3, first 2 shown]
	v_sub_u32_e32 v24, v119, v60
	ds_read_b128 v[32:35], v28
	ds_read_b128 v[40:43], v24
	v_add_f64 v[6:7], v[10:11], -v[6:7]
	v_fma_f64 v[2:3], v[10:11], 2.0, -v[6:7]
	s_waitcnt lgkmcnt(0)
	v_add_f64 v[28:29], v[32:33], -v[64:65]
	v_add_f64 v[36:37], v[40:41], -v[68:69]
	v_fma_f64 v[24:25], v[32:33], 2.0, -v[28:29]
	v_fma_f64 v[32:33], v[40:41], 2.0, -v[36:37]
	v_lshlrev_b32_e32 v40, 1, v48
	v_and_or_b32 v40, v40, s4, v70
	v_lshl_add_u32 v40, v40, 4, 0
	s_barrier
	ds_write_b128 v40, v[0:3]
	ds_write_b128 v40, v[4:7] offset:32
	s_movk_i32 s4, 0x1fc
	v_lshlrev_b32_e32 v40, 1, v50
	v_add_f64 v[14:15], v[18:19], -v[14:15]
	v_and_or_b32 v40, v40, s4, v70
	v_fma_f64 v[10:11], v[18:19], 2.0, -v[14:15]
	v_lshl_add_u32 v40, v40, 4, 0
	ds_write_b128 v40, v[8:11]
	ds_write_b128 v40, v[12:15] offset:32
	s_movk_i32 s4, 0x3fc
	v_lshlrev_b32_e32 v40, 1, v56
	v_add_f64 v[22:23], v[26:27], -v[22:23]
	v_and_or_b32 v40, v40, s4, v70
	v_fma_f64 v[18:19], v[26:27], 2.0, -v[22:23]
	v_lshl_add_u32 v40, v40, 4, 0
	ds_write_b128 v40, v[16:19]
	ds_write_b128 v40, v[20:23] offset:32
	v_lshlrev_b32_e32 v40, 1, v54
	v_add_f64 v[30:31], v[34:35], -v[30:31]
	v_and_or_b32 v40, v40, s4, v70
	v_fma_f64 v[26:27], v[34:35], 2.0, -v[30:31]
	v_lshl_add_u32 v40, v40, 4, 0
	ds_write_b128 v40, v[24:27]
	ds_write_b128 v40, v[28:31] offset:32
	s_movk_i32 s4, 0x7fc
	v_lshlrev_b32_e32 v40, 1, v52
	v_add_f64 v[38:39], v[42:43], -v[38:39]
	v_and_or_b32 v40, v40, s4, v70
	s_movk_i32 s4, 0x64
	v_fma_f64 v[34:35], v[42:43], 2.0, -v[38:39]
	v_lshl_add_u32 v40, v40, 4, 0
	v_cmp_gt_u32_e32 vcc, s4, v48
	ds_write_b128 v40, v[32:35]
	ds_write_b128 v40, v[36:39] offset:32
	s_waitcnt lgkmcnt(0)
	s_barrier
	s_waitcnt lgkmcnt(0)
                                        ; implicit-def: $vgpr42_vgpr43
	s_and_saveexec_b64 s[4:5], vcc
	s_cbranch_execz .LBB0_15
; %bb.14:
	ds_read_b128 v[0:3], v53
	ds_read_b128 v[4:7], v53 offset:1600
	ds_read_b128 v[8:11], v53 offset:3200
	;; [unrolled: 1-line block ×10, first 2 shown]
.LBB0_15:
	s_or_b64 exec, exec, s[4:5]
	v_sub_u32_e32 v120, 0, v58
	v_sub_u32_e32 v121, 0, v59
	;; [unrolled: 1-line block ×3, first 2 shown]
	s_waitcnt lgkmcnt(0)
	s_barrier
	s_and_saveexec_b64 s[4:5], vcc
	s_cbranch_execz .LBB0_17
; %bb.16:
	v_and_b32_e32 v123, 3, v48
	v_mul_u32_u24_e32 v58, 10, v123
	v_lshlrev_b32_e32 v58, 4, v58
	global_load_dwordx4 v[78:81], v58, s[8:9] offset:96
	global_load_dwordx4 v[82:85], v58, s[8:9] offset:112
	global_load_dwordx4 v[86:89], v58, s[8:9] offset:80
	global_load_dwordx4 v[90:93], v58, s[8:9] offset:128
	global_load_dwordx4 v[94:97], v58, s[8:9] offset:64
	global_load_dwordx4 v[98:101], v58, s[8:9] offset:144
	global_load_dwordx4 v[102:105], v58, s[8:9] offset:48
	global_load_dwordx4 v[106:109], v58, s[8:9] offset:160
	global_load_dwordx4 v[110:113], v58, s[8:9] offset:32
	global_load_dwordx4 v[114:117], v58, s[8:9] offset:176
	s_mov_b32 s14, 0xfd768dbf
	s_mov_b32 s24, 0xf8bb580b
	;; [unrolled: 1-line block ×26, first 2 shown]
	s_waitcnt vmcnt(9)
	v_mul_f64 v[58:59], v[22:23], v[80:81]
	s_waitcnt vmcnt(8)
	v_mul_f64 v[60:61], v[26:27], v[84:85]
	v_mul_f64 v[84:85], v[24:25], v[84:85]
	s_waitcnt vmcnt(6)
	v_mul_f64 v[62:63], v[30:31], v[92:93]
	;; [unrolled: 3-line block ×4, first 2 shown]
	s_waitcnt vmcnt(1)
	v_mul_f64 v[76:77], v[6:7], v[112:113]
	s_waitcnt vmcnt(0)
	v_mul_f64 v[72:73], v[42:43], v[116:117]
	v_mul_f64 v[68:69], v[38:39], v[108:109]
	;; [unrolled: 1-line block ×4, first 2 shown]
	v_fmac_f64_e32 v[76:77], v[4:5], v[110:111]
	v_fmac_f64_e32 v[72:73], v[40:41], v[114:115]
	v_mul_f64 v[70:71], v[14:15], v[96:97]
	v_mul_f64 v[104:105], v[8:9], v[104:105]
	;; [unrolled: 1-line block ×3, first 2 shown]
	v_fmac_f64_e32 v[60:61], v[24:25], v[82:83]
	v_fma_f64 v[24:25], v[26:27], v[82:83], -v[84:85]
	v_fmac_f64_e32 v[62:63], v[28:29], v[90:91]
	v_fma_f64 v[26:27], v[30:31], v[90:91], -v[92:93]
	v_fma_f64 v[28:29], v[34:35], v[98:99], -v[100:101]
	v_fmac_f64_e32 v[74:75], v[8:9], v[102:103]
	v_fmac_f64_e32 v[68:69], v[36:37], v[106:107]
	v_fma_f64 v[36:37], v[6:7], v[110:111], -v[112:113]
	v_fma_f64 v[30:31], v[42:43], v[114:115], -v[116:117]
	v_add_f64 v[100:101], v[76:77], -v[72:73]
	v_mul_f64 v[64:65], v[18:19], v[88:89]
	v_mul_f64 v[96:97], v[12:13], v[96:97]
	v_fmac_f64_e32 v[70:71], v[12:13], v[94:95]
	v_fmac_f64_e32 v[66:67], v[32:33], v[98:99]
	v_fma_f64 v[34:35], v[10:11], v[102:103], -v[104:105]
	v_fma_f64 v[32:33], v[38:39], v[106:107], -v[108:109]
	v_add_f64 v[98:99], v[74:75], -v[68:69]
	v_add_f64 v[40:41], v[36:37], v[30:31]
	v_mul_f64 v[8:9], v[100:101], s[14:15]
	v_mul_f64 v[80:81], v[20:21], v[80:81]
	v_mul_f64 v[88:89], v[16:17], v[88:89]
	v_fmac_f64_e32 v[64:65], v[16:17], v[86:87]
	v_fma_f64 v[82:83], v[14:15], v[94:95], -v[96:97]
	v_add_f64 v[38:39], v[34:35], v[32:33]
	v_add_f64 v[94:95], v[70:71], -v[66:67]
	v_mul_f64 v[10:11], v[98:99], s[24:25]
	v_fma_f64 v[4:5], s[12:13], v[40:41], v[8:9]
	v_fmac_f64_e32 v[58:59], v[20:21], v[78:79]
	v_fma_f64 v[78:79], v[22:23], v[78:79], -v[80:81]
	v_fma_f64 v[80:81], v[18:19], v[86:87], -v[88:89]
	v_add_f64 v[42:43], v[82:83], v[28:29]
	v_add_f64 v[92:93], v[64:65], -v[62:63]
	v_add_f64 v[102:103], v[36:37], -v[30:31]
	v_mul_f64 v[12:13], v[94:95], s[20:21]
	v_fma_f64 v[6:7], s[10:11], v[38:39], v[10:11]
	v_add_f64 v[4:5], v[2:3], v[4:5]
	v_add_f64 v[84:85], v[80:81], v[26:27]
	;; [unrolled: 1-line block ×3, first 2 shown]
	v_mul_f64 v[14:15], v[92:93], s[22:23]
	v_mul_f64 v[16:17], v[102:103], s[14:15]
	v_fma_f64 v[18:19], s[16:17], v[42:43], v[12:13]
	v_add_f64 v[4:5], v[6:7], v[4:5]
	v_add_f64 v[112:113], v[34:35], -v[32:33]
	v_fma_f64 v[20:21], s[18:19], v[84:85], v[14:15]
	v_add_f64 v[4:5], v[18:19], v[4:5]
	v_fma_f64 v[6:7], v[86:87], s[12:13], -v[16:17]
	v_add_f64 v[88:89], v[74:75], v[68:69]
	v_mul_f64 v[18:19], v[112:113], s[24:25]
	v_fma_f64 v[8:9], v[40:41], s[12:13], -v[8:9]
	v_add_f64 v[4:5], v[20:21], v[4:5]
	v_add_f64 v[6:7], v[0:1], v[6:7]
	v_fma_f64 v[20:21], v[88:89], s[10:11], -v[18:19]
	v_add_f64 v[108:109], v[82:83], -v[28:29]
	v_fma_f64 v[10:11], v[38:39], s[10:11], -v[10:11]
	v_add_f64 v[8:9], v[2:3], v[8:9]
	v_add_f64 v[6:7], v[20:21], v[6:7]
	;; [unrolled: 1-line block ×3, first 2 shown]
	v_mul_f64 v[20:21], v[108:109], s[20:21]
	v_add_f64 v[8:9], v[10:11], v[8:9]
	v_fma_f64 v[10:11], v[42:43], s[16:17], -v[12:13]
	v_fma_f64 v[22:23], v[90:91], s[16:17], -v[20:21]
	v_add_f64 v[110:111], v[80:81], -v[26:27]
	v_add_f64 v[8:9], v[10:11], v[8:9]
	v_fma_f64 v[10:11], v[84:85], s[18:19], -v[14:15]
	v_fmac_f64_e32 v[16:17], s[12:13], v[86:87]
	v_add_f64 v[6:7], v[22:23], v[6:7]
	v_add_f64 v[96:97], v[64:65], v[62:63]
	v_mul_f64 v[22:23], v[110:111], s[22:23]
	v_add_f64 v[114:115], v[58:59], -v[60:61]
	v_add_f64 v[8:9], v[10:11], v[8:9]
	v_fmac_f64_e32 v[18:19], s[10:11], v[88:89]
	v_add_f64 v[10:11], v[0:1], v[16:17]
	v_fma_f64 v[104:105], v[96:97], s[18:19], -v[22:23]
	v_mul_f64 v[126:127], v[114:115], s[28:29]
	v_add_f64 v[106:107], v[78:79], v[24:25]
	v_add_f64 v[116:117], v[78:79], -v[24:25]
	v_add_f64 v[10:11], v[18:19], v[10:11]
	v_fmac_f64_e32 v[20:21], s[16:17], v[90:91]
	v_add_f64 v[124:125], v[104:105], v[6:7]
	v_fma_f64 v[6:7], s[26:27], v[106:107], v[126:127]
	v_add_f64 v[104:105], v[58:59], v[60:61]
	v_mul_f64 v[128:129], v[116:117], s[28:29]
	v_add_f64 v[10:11], v[20:21], v[10:11]
	v_fmac_f64_e32 v[22:23], s[18:19], v[96:97]
	v_add_f64 v[6:7], v[6:7], v[4:5]
	v_fma_f64 v[4:5], v[104:105], s[26:27], -v[128:129]
	v_add_f64 v[12:13], v[22:23], v[10:11]
	v_fma_f64 v[10:11], v[106:107], s[26:27], -v[126:127]
	v_fmac_f64_e32 v[128:129], s[26:27], v[104:105]
	v_mul_f64 v[16:17], v[100:101], s[20:21]
	v_add_f64 v[10:11], v[10:11], v[8:9]
	v_add_f64 v[8:9], v[128:129], v[12:13]
	v_fma_f64 v[12:13], s[16:17], v[40:41], v[16:17]
	v_mul_f64 v[18:19], v[98:99], s[34:35]
	v_add_f64 v[12:13], v[2:3], v[12:13]
	v_fma_f64 v[14:15], s[26:27], v[38:39], v[18:19]
	v_mul_f64 v[20:21], v[94:95], s[30:31]
	;; [unrolled: 3-line block ×3, first 2 shown]
	v_add_f64 v[4:5], v[4:5], v[124:125]
	v_add_f64 v[12:13], v[14:15], v[12:13]
	v_fma_f64 v[14:15], s[12:13], v[84:85], v[22:23]
	v_mul_f64 v[124:125], v[102:103], s[20:21]
	v_add_f64 v[12:13], v[14:15], v[12:13]
	v_fma_f64 v[14:15], v[86:87], s[16:17], -v[124:125]
	v_mul_f64 v[126:127], v[112:113], s[34:35]
	v_fma_f64 v[16:17], v[40:41], s[16:17], -v[16:17]
	v_add_f64 v[14:15], v[0:1], v[14:15]
	v_fma_f64 v[128:129], v[88:89], s[26:27], -v[126:127]
	v_fma_f64 v[18:19], v[38:39], s[26:27], -v[18:19]
	v_add_f64 v[16:17], v[2:3], v[16:17]
	v_add_f64 v[14:15], v[128:129], v[14:15]
	v_mul_f64 v[128:129], v[108:109], s[30:31]
	v_add_f64 v[16:17], v[18:19], v[16:17]
	v_fma_f64 v[18:19], v[42:43], s[10:11], -v[20:21]
	v_fma_f64 v[130:131], v[90:91], s[10:11], -v[128:129]
	v_add_f64 v[16:17], v[18:19], v[16:17]
	v_fma_f64 v[18:19], v[84:85], s[12:13], -v[22:23]
	v_fmac_f64_e32 v[124:125], s[16:17], v[86:87]
	v_add_f64 v[14:15], v[130:131], v[14:15]
	v_mul_f64 v[130:131], v[110:111], s[14:15]
	v_add_f64 v[16:17], v[18:19], v[16:17]
	v_fmac_f64_e32 v[126:127], s[26:27], v[88:89]
	v_add_f64 v[18:19], v[0:1], v[124:125]
	v_fma_f64 v[132:133], v[96:97], s[12:13], -v[130:131]
	v_mul_f64 v[134:135], v[114:115], s[22:23]
	v_add_f64 v[18:19], v[126:127], v[18:19]
	v_fmac_f64_e32 v[128:129], s[10:11], v[90:91]
	v_add_f64 v[132:133], v[132:133], v[14:15]
	v_fma_f64 v[14:15], s[18:19], v[106:107], v[134:135]
	v_mul_f64 v[136:137], v[116:117], s[22:23]
	v_add_f64 v[18:19], v[128:129], v[18:19]
	v_fmac_f64_e32 v[130:131], s[12:13], v[96:97]
	v_add_f64 v[14:15], v[14:15], v[12:13]
	v_fma_f64 v[12:13], v[104:105], s[18:19], -v[136:137]
	v_add_f64 v[20:21], v[130:131], v[18:19]
	v_fma_f64 v[18:19], v[106:107], s[18:19], -v[134:135]
	v_fmac_f64_e32 v[136:137], s[18:19], v[104:105]
	v_mul_f64 v[124:125], v[100:101], s[28:29]
	v_add_f64 v[18:19], v[18:19], v[16:17]
	v_add_f64 v[16:17], v[136:137], v[20:21]
	v_fma_f64 v[20:21], s[26:27], v[40:41], v[124:125]
	v_mul_f64 v[126:127], v[98:99], s[36:37]
	v_add_f64 v[20:21], v[2:3], v[20:21]
	v_fma_f64 v[22:23], s[12:13], v[38:39], v[126:127]
	v_mul_f64 v[128:129], v[94:95], s[22:23]
	;; [unrolled: 3-line block ×3, first 2 shown]
	v_add_f64 v[12:13], v[12:13], v[132:133]
	v_add_f64 v[20:21], v[22:23], v[20:21]
	v_fma_f64 v[22:23], s[10:11], v[84:85], v[130:131]
	v_mul_f64 v[132:133], v[102:103], s[28:29]
	v_add_f64 v[20:21], v[22:23], v[20:21]
	v_fma_f64 v[22:23], v[86:87], s[26:27], -v[132:133]
	v_mul_f64 v[134:135], v[112:113], s[36:37]
	v_fma_f64 v[124:125], v[40:41], s[26:27], -v[124:125]
	v_add_f64 v[22:23], v[0:1], v[22:23]
	v_fma_f64 v[136:137], v[88:89], s[12:13], -v[134:135]
	v_fma_f64 v[126:127], v[38:39], s[12:13], -v[126:127]
	v_add_f64 v[124:125], v[2:3], v[124:125]
	v_add_f64 v[22:23], v[136:137], v[22:23]
	v_mul_f64 v[136:137], v[108:109], s[22:23]
	v_add_f64 v[124:125], v[126:127], v[124:125]
	v_fma_f64 v[126:127], v[42:43], s[18:19], -v[128:129]
	v_fma_f64 v[138:139], v[90:91], s[18:19], -v[136:137]
	v_add_f64 v[124:125], v[126:127], v[124:125]
	v_fma_f64 v[126:127], v[84:85], s[10:11], -v[130:131]
	v_fmac_f64_e32 v[132:133], s[26:27], v[86:87]
	v_add_f64 v[22:23], v[138:139], v[22:23]
	v_mul_f64 v[138:139], v[110:111], s[30:31]
	v_add_f64 v[124:125], v[126:127], v[124:125]
	v_fmac_f64_e32 v[134:135], s[12:13], v[88:89]
	v_add_f64 v[126:127], v[0:1], v[132:133]
	v_fma_f64 v[140:141], v[96:97], s[10:11], -v[138:139]
	v_mul_f64 v[142:143], v[114:115], s[20:21]
	v_add_f64 v[126:127], v[134:135], v[126:127]
	v_fmac_f64_e32 v[136:137], s[18:19], v[90:91]
	v_add_f64 v[140:141], v[140:141], v[22:23]
	v_fma_f64 v[22:23], s[16:17], v[106:107], v[142:143]
	v_mul_f64 v[144:145], v[116:117], s[20:21]
	v_add_f64 v[126:127], v[136:137], v[126:127]
	v_fmac_f64_e32 v[138:139], s[10:11], v[96:97]
	s_mov_b32 s23, 0xbfed1bb4
	v_add_f64 v[22:23], v[22:23], v[20:21]
	v_fma_f64 v[20:21], v[104:105], s[16:17], -v[144:145]
	v_add_f64 v[128:129], v[138:139], v[126:127]
	v_fma_f64 v[126:127], v[106:107], s[16:17], -v[142:143]
	v_fmac_f64_e32 v[144:145], s[16:17], v[104:105]
	v_mul_f64 v[132:133], v[100:101], s[22:23]
	v_add_f64 v[126:127], v[126:127], v[124:125]
	v_add_f64 v[124:125], v[144:145], v[128:129]
	v_fma_f64 v[128:129], s[18:19], v[40:41], v[132:133]
	v_mul_f64 v[134:135], v[98:99], s[20:21]
	v_add_f64 v[128:129], v[2:3], v[128:129]
	v_fma_f64 v[130:131], s[16:17], v[38:39], v[134:135]
	v_mul_f64 v[136:137], v[94:95], s[36:37]
	;; [unrolled: 3-line block ×3, first 2 shown]
	v_add_f64 v[20:21], v[20:21], v[140:141]
	v_add_f64 v[128:129], v[130:131], v[128:129]
	v_fma_f64 v[130:131], s[26:27], v[84:85], v[138:139]
	v_mul_f64 v[140:141], v[102:103], s[22:23]
	v_add_f64 v[128:129], v[130:131], v[128:129]
	v_fma_f64 v[130:131], v[86:87], s[18:19], -v[140:141]
	v_mul_f64 v[142:143], v[112:113], s[20:21]
	v_fma_f64 v[132:133], v[40:41], s[18:19], -v[132:133]
	v_add_f64 v[130:131], v[0:1], v[130:131]
	v_fma_f64 v[144:145], v[88:89], s[16:17], -v[142:143]
	v_fma_f64 v[134:135], v[38:39], s[16:17], -v[134:135]
	v_add_f64 v[132:133], v[2:3], v[132:133]
	v_add_f64 v[130:131], v[144:145], v[130:131]
	v_mul_f64 v[144:145], v[108:109], s[36:37]
	v_add_f64 v[132:133], v[134:135], v[132:133]
	v_fma_f64 v[134:135], v[42:43], s[12:13], -v[136:137]
	v_fma_f64 v[146:147], v[90:91], s[12:13], -v[144:145]
	v_add_f64 v[132:133], v[134:135], v[132:133]
	v_fma_f64 v[134:135], v[84:85], s[26:27], -v[138:139]
	v_fmac_f64_e32 v[140:141], s[18:19], v[86:87]
	v_add_f64 v[130:131], v[146:147], v[130:131]
	v_mul_f64 v[146:147], v[110:111], s[34:35]
	v_add_f64 v[132:133], v[134:135], v[132:133]
	v_fmac_f64_e32 v[142:143], s[16:17], v[88:89]
	v_add_f64 v[134:135], v[0:1], v[140:141]
	v_fma_f64 v[148:149], v[96:97], s[26:27], -v[146:147]
	v_mul_f64 v[150:151], v[114:115], s[24:25]
	v_add_f64 v[134:135], v[142:143], v[134:135]
	v_fmac_f64_e32 v[144:145], s[12:13], v[90:91]
	v_add_f64 v[148:149], v[148:149], v[130:131]
	v_fma_f64 v[130:131], s[10:11], v[106:107], v[150:151]
	v_mul_f64 v[152:153], v[116:117], s[24:25]
	v_add_f64 v[134:135], v[144:145], v[134:135]
	v_fmac_f64_e32 v[146:147], s[26:27], v[96:97]
	v_add_f64 v[130:131], v[130:131], v[128:129]
	v_fma_f64 v[128:129], v[104:105], s[10:11], -v[152:153]
	v_add_f64 v[136:137], v[146:147], v[134:135]
	v_fma_f64 v[134:135], v[106:107], s[10:11], -v[150:151]
	v_fmac_f64_e32 v[152:153], s[10:11], v[104:105]
	v_mul_f64 v[100:101], v[100:101], s[30:31]
	v_add_f64 v[134:135], v[134:135], v[132:133]
	v_add_f64 v[132:133], v[152:153], v[136:137]
	v_mul_f64 v[98:99], v[98:99], s[22:23]
	v_fma_f64 v[136:137], s[10:11], v[40:41], v[100:101]
	v_add_f64 v[136:137], v[2:3], v[136:137]
	v_fma_f64 v[138:139], s[18:19], v[38:39], v[98:99]
	v_add_f64 v[136:137], v[138:139], v[136:137]
	v_mul_f64 v[138:139], v[94:95], s[28:29]
	v_fma_f64 v[94:95], s[26:27], v[42:43], v[138:139]
	v_add_f64 v[94:95], v[94:95], v[136:137]
	v_mul_f64 v[136:137], v[92:93], s[20:21]
	v_fma_f64 v[92:93], s[16:17], v[84:85], v[136:137]
	v_mul_f64 v[102:103], v[102:103], s[30:31]
	v_fma_f64 v[40:41], v[40:41], s[10:11], -v[100:101]
	v_add_f64 v[92:93], v[92:93], v[94:95]
	v_fma_f64 v[94:95], v[86:87], s[10:11], -v[102:103]
	v_fma_f64 v[38:39], v[38:39], s[18:19], -v[98:99]
	v_add_f64 v[40:41], v[2:3], v[40:41]
	v_fmac_f64_e32 v[102:103], s[10:11], v[86:87]
	v_add_f64 v[94:95], v[0:1], v[94:95]
	v_add_f64 v[38:39], v[38:39], v[40:41]
	;; [unrolled: 1-line block ×11, first 2 shown]
	v_mul_f64 v[112:113], v[112:113], s[22:23]
	v_add_f64 v[2:3], v[2:3], v[78:79]
	v_add_f64 v[0:1], v[0:1], v[58:59]
	v_fma_f64 v[140:141], v[88:89], s[18:19], -v[112:113]
	v_mul_f64 v[108:109], v[108:109], s[28:29]
	v_add_f64 v[2:3], v[2:3], v[24:25]
	v_add_f64 v[0:1], v[0:1], v[60:61]
	v_add_f64 v[94:95], v[140:141], v[94:95]
	v_fma_f64 v[140:141], v[90:91], s[26:27], -v[108:109]
	v_mul_f64 v[110:111], v[110:111], s[20:21]
	v_fmac_f64_e32 v[112:113], s[18:19], v[88:89]
	v_add_f64 v[2:3], v[2:3], v[26:27]
	v_add_f64 v[0:1], v[0:1], v[62:63]
	v_lshrrev_b32_e32 v24, 2, v48
	v_add_f64 v[94:95], v[140:141], v[94:95]
	v_fma_f64 v[140:141], v[96:97], s[16:17], -v[110:111]
	v_mul_f64 v[114:115], v[114:115], s[14:15]
	v_fma_f64 v[42:43], v[42:43], s[26:27], -v[138:139]
	v_fmac_f64_e32 v[108:109], s[26:27], v[90:91]
	v_add_f64 v[40:41], v[112:113], v[40:41]
	v_add_f64 v[2:3], v[2:3], v[28:29]
	;; [unrolled: 1-line block ×3, first 2 shown]
	v_mul_u32_u24_e32 v24, 44, v24
	v_add_f64 v[140:141], v[140:141], v[94:95]
	v_fma_f64 v[94:95], s[12:13], v[106:107], v[114:115]
	v_mul_f64 v[116:117], v[116:117], s[14:15]
	v_fma_f64 v[84:85], v[84:85], s[16:17], -v[136:137]
	v_add_f64 v[38:39], v[42:43], v[38:39]
	v_fmac_f64_e32 v[110:111], s[16:17], v[96:97]
	v_add_f64 v[40:41], v[108:109], v[40:41]
	v_add_f64 v[2:3], v[2:3], v[32:33]
	;; [unrolled: 1-line block ×3, first 2 shown]
	v_or_b32_e32 v24, v24, v123
	v_add_f64 v[94:95], v[94:95], v[92:93]
	v_fma_f64 v[92:93], v[104:105], s[12:13], -v[116:117]
	v_fma_f64 v[106:107], v[106:107], s[12:13], -v[114:115]
	v_add_f64 v[38:39], v[84:85], v[38:39]
	v_fmac_f64_e32 v[116:117], s[12:13], v[104:105]
	v_add_f64 v[42:43], v[110:111], v[40:41]
	v_add_f64 v[2:3], v[2:3], v[30:31]
	;; [unrolled: 1-line block ×3, first 2 shown]
	v_lshl_add_u32 v24, v24, 4, 0
	v_add_f64 v[128:129], v[128:129], v[148:149]
	v_add_f64 v[92:93], v[92:93], v[140:141]
	v_add_f64 v[40:41], v[106:107], v[38:39]
	v_add_f64 v[38:39], v[116:117], v[42:43]
	ds_write_b128 v24, v[0:3]
	ds_write_b128 v24, v[38:41] offset:64
	ds_write_b128 v24, v[132:135] offset:128
	;; [unrolled: 1-line block ×10, first 2 shown]
.LBB0_17:
	s_or_b64 exec, exec, s[4:5]
	s_movk_i32 s4, 0xbb
	v_mul_lo_u16_sdwa v0, v48, s4 dst_sel:DWORD dst_unused:UNUSED_PAD src0_sel:BYTE_0 src1_sel:DWORD
	v_lshrrev_b16_e32 v13, 13, v0
	v_mul_lo_u16_e32 v0, 44, v13
	v_sub_u16_e32 v106, v48, v0
	v_mov_b32_e32 v0, 6
	v_lshlrev_b32_sdwa v1, v0, v106 dst_sel:DWORD dst_unused:UNUSED_PAD src0_sel:DWORD src1_sel:BYTE_0
	s_waitcnt lgkmcnt(0)
	s_barrier
	global_load_dwordx4 v[14:17], v1, s[8:9] offset:688
	global_load_dwordx4 v[18:21], v1, s[8:9] offset:672
	;; [unrolled: 1-line block ×4, first 2 shown]
	v_mul_lo_u16_sdwa v1, v50, s4 dst_sel:DWORD dst_unused:UNUSED_PAD src0_sel:BYTE_0 src1_sel:DWORD
	v_lshrrev_b16_e32 v107, 13, v1
	v_mul_lo_u16_e32 v1, 44, v107
	v_sub_u16_e32 v108, v50, v1
	v_lshlrev_b32_sdwa v0, v0, v108 dst_sel:DWORD dst_unused:UNUSED_PAD src0_sel:DWORD src1_sel:BYTE_0
	global_load_dwordx4 v[30:33], v0, s[8:9] offset:672
	global_load_dwordx4 v[34:37], v0, s[8:9] offset:688
	;; [unrolled: 1-line block ×4, first 2 shown]
	v_add_u32_e32 v11, v57, v121
	v_add_u32_e32 v10, v119, v122
	;; [unrolled: 1-line block ×3, first 2 shown]
	ds_read_b128 v[0:3], v53
	ds_read_b128 v[62:65], v53 offset:5280
	ds_read_b128 v[66:69], v53 offset:10560
	ds_read_b128 v[70:73], v53 offset:8800
	ds_read_b128 v[74:77], v53 offset:14080
	ds_read_b128 v[78:81], v53 offset:12320
	ds_read_b128 v[82:85], v11
	ds_read_b128 v[86:89], v10
	;; [unrolled: 1-line block ×3, first 2 shown]
	ds_read_b128 v[90:93], v53 offset:15840
	s_mov_b32 s10, 0x134454ff
	s_mov_b32 s11, 0xbfee6f0e
	;; [unrolled: 1-line block ×10, first 2 shown]
	s_waitcnt lgkmcnt(0)
	s_barrier
	v_cmp_ne_u32_e32 vcc, 0, v48
	s_waitcnt vmcnt(7)
	v_mul_f64 v[42:43], v[88:89], v[16:17]
	s_waitcnt vmcnt(6)
	v_mul_f64 v[8:9], v[84:85], v[20:21]
	v_mul_f64 v[20:21], v[82:83], v[20:21]
	s_waitcnt vmcnt(4)
	v_mul_f64 v[94:95], v[68:69], v[28:29]
	v_mul_f64 v[16:17], v[86:87], v[16:17]
	;; [unrolled: 1-line block ×5, first 2 shown]
	v_fmac_f64_e32 v[8:9], v[82:83], v[18:19]
	v_fmac_f64_e32 v[42:43], v[86:87], v[14:15]
	v_fmac_f64_e32 v[94:95], v[66:67], v[26:27]
	v_fma_f64 v[82:83], v[84:85], v[18:19], -v[20:21]
	v_fma_f64 v[84:85], v[88:89], v[14:15], -v[16:17]
	;; [unrolled: 1-line block ×3, first 2 shown]
	v_fmac_f64_e32 v[96:97], v[74:75], v[22:23]
	v_fma_f64 v[68:69], v[76:77], v[22:23], -v[24:25]
	v_add_f64 v[14:15], v[0:1], v[8:9]
	v_add_f64 v[16:17], v[42:43], v[94:95]
	v_add_f64 v[20:21], v[82:83], -v[68:69]
	v_add_f64 v[18:19], v[8:9], -v[42:43]
	;; [unrolled: 1-line block ×3, first 2 shown]
	v_add_f64 v[26:27], v[14:15], v[42:43]
	v_fma_f64 v[14:15], -0.5, v[16:17], v[0:1]
	v_add_f64 v[24:25], v[84:85], -v[66:67]
	v_add_f64 v[16:17], v[18:19], v[22:23]
	v_fma_f64 v[18:19], s[10:11], v[20:21], v[14:15]
	v_fmac_f64_e32 v[14:15], s[14:15], v[20:21]
	v_fmac_f64_e32 v[18:19], s[4:5], v[24:25]
	;; [unrolled: 1-line block ×5, first 2 shown]
	v_add_f64 v[16:17], v[8:9], v[96:97]
	v_fmac_f64_e32 v[0:1], -0.5, v[16:17]
	v_add_f64 v[22:23], v[26:27], v[94:95]
	v_fma_f64 v[26:27], s[14:15], v[24:25], v[0:1]
	v_add_f64 v[16:17], v[42:43], -v[8:9]
	v_add_f64 v[28:29], v[94:95], -v[96:97]
	v_fmac_f64_e32 v[0:1], s[10:11], v[24:25]
	v_fmac_f64_e32 v[26:27], s[4:5], v[20:21]
	v_add_f64 v[16:17], v[16:17], v[28:29]
	v_fmac_f64_e32 v[0:1], s[16:17], v[20:21]
	v_fmac_f64_e32 v[26:27], s[12:13], v[16:17]
	;; [unrolled: 1-line block ×3, first 2 shown]
	v_add_f64 v[16:17], v[2:3], v[82:83]
	v_add_f64 v[16:17], v[16:17], v[84:85]
	;; [unrolled: 1-line block ×5, first 2 shown]
	s_waitcnt vmcnt(3)
	v_mul_f64 v[98:99], v[64:65], v[32:33]
	v_mul_f64 v[32:33], v[62:63], v[32:33]
	v_fma_f64 v[16:17], -0.5, v[16:17], v[2:3]
	v_add_f64 v[8:9], v[8:9], -v[96:97]
	v_fmac_f64_e32 v[98:99], v[62:63], v[30:31]
	v_fma_f64 v[62:63], v[64:65], v[30:31], -v[32:33]
	v_fma_f64 v[20:21], s[14:15], v[8:9], v[16:17]
	v_add_f64 v[30:31], v[42:43], -v[94:95]
	v_add_f64 v[28:29], v[82:83], -v[84:85]
	;; [unrolled: 1-line block ×3, first 2 shown]
	v_fmac_f64_e32 v[16:17], s[10:11], v[8:9]
	v_fmac_f64_e32 v[20:21], s[16:17], v[30:31]
	v_add_f64 v[28:29], v[28:29], v[32:33]
	v_fmac_f64_e32 v[16:17], s[4:5], v[30:31]
	v_fmac_f64_e32 v[20:21], s[12:13], v[28:29]
	;; [unrolled: 1-line block ×3, first 2 shown]
	v_add_f64 v[28:29], v[82:83], v[68:69]
	v_fmac_f64_e32 v[2:3], -0.5, v[28:29]
	s_waitcnt vmcnt(2)
	v_mul_f64 v[100:101], v[72:73], v[36:37]
	v_fma_f64 v[28:29], s[10:11], v[30:31], v[2:3]
	v_fmac_f64_e32 v[2:3], s[14:15], v[30:31]
	s_waitcnt vmcnt(1)
	v_mul_f64 v[102:103], v[80:81], v[40:41]
	v_fmac_f64_e32 v[100:101], v[70:71], v[34:35]
	v_fmac_f64_e32 v[28:29], s[16:17], v[8:9]
	;; [unrolled: 1-line block ×3, first 2 shown]
	v_add_f64 v[8:9], v[4:5], v[98:99]
	s_waitcnt vmcnt(0)
	v_mul_f64 v[104:105], v[92:93], v[60:61]
	v_fmac_f64_e32 v[102:103], v[78:79], v[38:39]
	v_add_f64 v[8:9], v[8:9], v[100:101]
	v_mul_f64 v[36:37], v[70:71], v[36:37]
	v_mul_f64 v[60:61], v[90:91], v[60:61]
	v_fmac_f64_e32 v[104:105], v[90:91], v[58:59]
	v_add_f64 v[8:9], v[8:9], v[102:103]
	v_mul_f64 v[40:41], v[78:79], v[40:41]
	v_fma_f64 v[64:65], v[72:73], v[34:35], -v[36:37]
	v_fma_f64 v[72:73], v[92:93], v[58:59], -v[60:61]
	v_add_f64 v[32:33], v[84:85], -v[82:83]
	v_add_f64 v[34:35], v[66:67], -v[68:69]
	v_add_f64 v[30:31], v[8:9], v[104:105]
	v_add_f64 v[8:9], v[100:101], v[102:103]
	v_fma_f64 v[70:71], v[80:81], v[38:39], -v[40:41]
	v_add_f64 v[32:33], v[32:33], v[34:35]
	v_fma_f64 v[34:35], -0.5, v[8:9], v[4:5]
	v_add_f64 v[8:9], v[62:63], -v[72:73]
	v_fmac_f64_e32 v[28:29], s[12:13], v[32:33]
	v_fmac_f64_e32 v[2:3], s[12:13], v[32:33]
	v_fma_f64 v[38:39], s[10:11], v[8:9], v[34:35]
	v_add_f64 v[32:33], v[64:65], -v[70:71]
	v_add_f64 v[36:37], v[98:99], -v[100:101]
	;; [unrolled: 1-line block ×3, first 2 shown]
	v_fmac_f64_e32 v[34:35], s[14:15], v[8:9]
	v_fmac_f64_e32 v[38:39], s[4:5], v[32:33]
	v_add_f64 v[36:37], v[36:37], v[40:41]
	v_fmac_f64_e32 v[34:35], s[16:17], v[32:33]
	v_fmac_f64_e32 v[38:39], s[12:13], v[36:37]
	;; [unrolled: 1-line block ×3, first 2 shown]
	v_add_f64 v[36:37], v[98:99], v[104:105]
	v_fmac_f64_e32 v[4:5], -0.5, v[36:37]
	v_fma_f64 v[58:59], s[14:15], v[32:33], v[4:5]
	v_fmac_f64_e32 v[4:5], s[10:11], v[32:33]
	v_fmac_f64_e32 v[58:59], s[4:5], v[8:9]
	v_fmac_f64_e32 v[4:5], s[16:17], v[8:9]
	v_add_f64 v[8:9], v[6:7], v[62:63]
	v_add_f64 v[8:9], v[8:9], v[64:65]
	v_add_f64 v[36:37], v[100:101], -v[98:99]
	v_add_f64 v[40:41], v[102:103], -v[104:105]
	v_add_f64 v[8:9], v[8:9], v[70:71]
	v_add_f64 v[36:37], v[36:37], v[40:41]
	;; [unrolled: 1-line block ×4, first 2 shown]
	v_fmac_f64_e32 v[58:59], s[12:13], v[36:37]
	v_fmac_f64_e32 v[4:5], s[12:13], v[36:37]
	v_fma_f64 v[36:37], -0.5, v[8:9], v[6:7]
	v_add_f64 v[8:9], v[98:99], -v[104:105]
	v_fma_f64 v[40:41], s[14:15], v[8:9], v[36:37]
	v_add_f64 v[42:43], v[100:101], -v[102:103]
	v_add_f64 v[60:61], v[62:63], -v[64:65]
	;; [unrolled: 1-line block ×3, first 2 shown]
	v_fmac_f64_e32 v[36:37], s[10:11], v[8:9]
	v_fmac_f64_e32 v[40:41], s[16:17], v[42:43]
	v_add_f64 v[60:61], v[60:61], v[66:67]
	v_fmac_f64_e32 v[36:37], s[4:5], v[42:43]
	v_fmac_f64_e32 v[40:41], s[12:13], v[60:61]
	;; [unrolled: 1-line block ×3, first 2 shown]
	v_add_f64 v[60:61], v[62:63], v[72:73]
	v_fmac_f64_e32 v[6:7], -0.5, v[60:61]
	v_fma_f64 v[60:61], s[10:11], v[42:43], v[6:7]
	v_fmac_f64_e32 v[6:7], s[14:15], v[42:43]
	v_fmac_f64_e32 v[60:61], s[16:17], v[8:9]
	;; [unrolled: 1-line block ×3, first 2 shown]
	v_mov_b32_e32 v9, 4
	v_mul_u32_u24_e32 v8, 0xdc0, v13
	v_lshlrev_b32_sdwa v13, v9, v106 dst_sel:DWORD dst_unused:UNUSED_PAD src0_sel:DWORD src1_sel:BYTE_0
	v_add_f64 v[22:23], v[22:23], v[96:97]
	v_add3_u32 v8, 0, v8, v13
	v_add_f64 v[62:63], v[64:65], -v[62:63]
	v_add_f64 v[64:65], v[70:71], -v[72:73]
	ds_write_b128 v8, v[22:25]
	ds_write_b128 v8, v[18:21] offset:704
	ds_write_b128 v8, v[26:29] offset:1408
	;; [unrolled: 1-line block ×4, first 2 shown]
	v_mul_u32_u24_e32 v0, 0xdc0, v107
	v_lshlrev_b32_sdwa v1, v9, v108 dst_sel:DWORD dst_unused:UNUSED_PAD src0_sel:DWORD src1_sel:BYTE_0
	v_add_f64 v[62:63], v[62:63], v[64:65]
	v_add3_u32 v0, 0, v0, v1
	v_lshlrev_b32_e32 v8, 2, v48
	v_mov_b32_e32 v9, 0
	v_fmac_f64_e32 v[60:61], s[12:13], v[62:63]
	v_fmac_f64_e32 v[6:7], s[12:13], v[62:63]
	ds_write_b128 v0, v[30:33]
	ds_write_b128 v0, v[38:41] offset:704
	ds_write_b128 v0, v[58:61] offset:1408
	;; [unrolled: 1-line block ×4, first 2 shown]
	v_lshl_add_u64 v[0:1], v[8:9], 4, s[8:9]
	s_waitcnt lgkmcnt(0)
	s_barrier
	global_load_dwordx4 v[14:17], v[0:1], off offset:3488
	global_load_dwordx4 v[18:21], v[0:1], off offset:3504
	;; [unrolled: 1-line block ×4, first 2 shown]
	v_lshlrev_b32_e32 v8, 2, v50
	v_lshl_add_u64 v[0:1], v[8:9], 4, s[8:9]
	global_load_dwordx4 v[30:33], v[0:1], off offset:3488
	global_load_dwordx4 v[34:37], v[0:1], off offset:3504
	;; [unrolled: 1-line block ×4, first 2 shown]
	ds_read_b128 v[62:65], v11
	ds_read_b128 v[66:69], v10
	;; [unrolled: 1-line block ×4, first 2 shown]
	ds_read_b128 v[70:73], v53 offset:5280
	ds_read_b128 v[74:77], v53 offset:10560
	ds_read_b128 v[78:81], v53 offset:8800
	ds_read_b128 v[82:85], v53 offset:14080
	ds_read_b128 v[86:89], v53 offset:12320
	ds_read_b128 v[90:93], v53 offset:15840
	s_waitcnt lgkmcnt(0)
	s_barrier
	v_sub_u32_e32 v8, 0, v49
	s_waitcnt vmcnt(7)
	v_mul_f64 v[42:43], v[64:65], v[16:17]
	v_mul_f64 v[16:17], v[62:63], v[16:17]
	v_fmac_f64_e32 v[42:43], v[62:63], v[14:15]
	v_fma_f64 v[62:63], v[64:65], v[14:15], -v[16:17]
	s_waitcnt vmcnt(6)
	v_mul_f64 v[64:65], v[68:69], v[20:21]
	v_mul_f64 v[14:15], v[66:67], v[20:21]
	v_fmac_f64_e32 v[64:65], v[66:67], v[18:19]
	v_fma_f64 v[66:67], v[68:69], v[18:19], -v[14:15]
	;; [unrolled: 5-line block ×3, first 2 shown]
	s_waitcnt vmcnt(4)
	v_mul_f64 v[14:15], v[82:83], v[28:29]
	v_mul_f64 v[24:25], v[84:85], v[28:29]
	v_fma_f64 v[76:77], v[84:85], v[26:27], -v[14:15]
	v_add_f64 v[16:17], v[64:65], v[68:69]
	v_fmac_f64_e32 v[24:25], v[82:83], v[26:27]
	s_waitcnt vmcnt(3)
	v_mul_f64 v[82:83], v[72:73], v[32:33]
	v_mul_f64 v[14:15], v[70:71], v[32:33]
	v_fma_f64 v[18:19], -0.5, v[16:17], v[4:5]
	v_add_f64 v[16:17], v[62:63], -v[76:77]
	v_fmac_f64_e32 v[82:83], v[70:71], v[30:31]
	v_fma_f64 v[70:71], v[72:73], v[30:31], -v[14:15]
	s_waitcnt vmcnt(2)
	v_mul_f64 v[72:73], v[80:81], v[36:37]
	v_mul_f64 v[14:15], v[78:79], v[36:37]
	v_fma_f64 v[22:23], s[10:11], v[16:17], v[18:19]
	v_add_f64 v[20:21], v[66:67], -v[74:75]
	v_add_f64 v[26:27], v[42:43], -v[64:65]
	;; [unrolled: 1-line block ×3, first 2 shown]
	v_fmac_f64_e32 v[18:19], s[14:15], v[16:17]
	v_fmac_f64_e32 v[72:73], v[78:79], v[34:35]
	v_fma_f64 v[78:79], v[80:81], v[34:35], -v[14:15]
	s_waitcnt vmcnt(1)
	v_mul_f64 v[14:15], v[86:87], v[40:41]
	v_fmac_f64_e32 v[22:23], s[4:5], v[20:21]
	v_add_f64 v[26:27], v[26:27], v[28:29]
	v_fmac_f64_e32 v[18:19], s[16:17], v[20:21]
	v_mul_f64 v[80:81], v[88:89], v[40:41]
	v_fma_f64 v[84:85], v[88:89], v[38:39], -v[14:15]
	s_waitcnt vmcnt(0)
	v_mul_f64 v[14:15], v[90:91], v[60:61]
	v_fmac_f64_e32 v[22:23], s[12:13], v[26:27]
	v_fmac_f64_e32 v[18:19], s[12:13], v[26:27]
	v_add_f64 v[26:27], v[42:43], v[24:25]
	v_fmac_f64_e32 v[80:81], v[86:87], v[38:39]
	v_fma_f64 v[86:87], v[92:93], v[58:59], -v[14:15]
	v_add_f64 v[14:15], v[4:5], v[42:43]
	v_fmac_f64_e32 v[4:5], -0.5, v[26:27]
	v_add_f64 v[14:15], v[14:15], v[64:65]
	v_fma_f64 v[26:27], s[14:15], v[20:21], v[4:5]
	v_add_f64 v[28:29], v[64:65], -v[42:43]
	v_add_f64 v[30:31], v[68:69], -v[24:25]
	v_fmac_f64_e32 v[4:5], s[10:11], v[20:21]
	v_add_f64 v[20:21], v[66:67], v[74:75]
	v_add_f64 v[14:15], v[14:15], v[68:69]
	v_fmac_f64_e32 v[26:27], s[4:5], v[16:17]
	v_add_f64 v[28:29], v[28:29], v[30:31]
	v_fmac_f64_e32 v[4:5], s[16:17], v[16:17]
	v_fma_f64 v[20:21], -0.5, v[20:21], v[6:7]
	v_add_f64 v[30:31], v[42:43], -v[24:25]
	v_add_f64 v[14:15], v[14:15], v[24:25]
	v_fmac_f64_e32 v[26:27], s[12:13], v[28:29]
	v_fmac_f64_e32 v[4:5], s[12:13], v[28:29]
	v_fma_f64 v[24:25], s[14:15], v[30:31], v[20:21]
	v_add_f64 v[32:33], v[64:65], -v[68:69]
	v_add_f64 v[28:29], v[62:63], -v[66:67]
	;; [unrolled: 1-line block ×3, first 2 shown]
	v_fmac_f64_e32 v[20:21], s[10:11], v[30:31]
	v_fmac_f64_e32 v[24:25], s[16:17], v[32:33]
	v_add_f64 v[28:29], v[28:29], v[34:35]
	v_fmac_f64_e32 v[20:21], s[4:5], v[32:33]
	v_fmac_f64_e32 v[24:25], s[12:13], v[28:29]
	;; [unrolled: 1-line block ×3, first 2 shown]
	v_add_f64 v[28:29], v[62:63], v[76:77]
	v_add_f64 v[16:17], v[6:7], v[62:63]
	v_fmac_f64_e32 v[6:7], -0.5, v[28:29]
	v_fma_f64 v[28:29], s[10:11], v[32:33], v[6:7]
	v_add_f64 v[34:35], v[66:67], -v[62:63]
	v_add_f64 v[36:37], v[74:75], -v[76:77]
	v_fmac_f64_e32 v[6:7], s[14:15], v[32:33]
	v_mul_f64 v[40:41], v[92:93], v[60:61]
	v_fmac_f64_e32 v[28:29], s[16:17], v[30:31]
	v_add_f64 v[34:35], v[34:35], v[36:37]
	v_fmac_f64_e32 v[6:7], s[4:5], v[30:31]
	v_add_f64 v[32:33], v[72:73], v[80:81]
	v_fmac_f64_e32 v[40:41], v[90:91], v[58:59]
	v_fmac_f64_e32 v[28:29], s[12:13], v[34:35]
	;; [unrolled: 1-line block ×3, first 2 shown]
	v_fma_f64 v[34:35], -0.5, v[32:33], v[0:1]
	v_add_f64 v[32:33], v[70:71], -v[86:87]
	v_fma_f64 v[38:39], s[10:11], v[32:33], v[34:35]
	v_add_f64 v[36:37], v[78:79], -v[84:85]
	v_add_f64 v[42:43], v[82:83], -v[72:73]
	;; [unrolled: 1-line block ×3, first 2 shown]
	v_fmac_f64_e32 v[34:35], s[14:15], v[32:33]
	v_fmac_f64_e32 v[38:39], s[4:5], v[36:37]
	v_add_f64 v[42:43], v[42:43], v[58:59]
	v_fmac_f64_e32 v[34:35], s[16:17], v[36:37]
	v_fmac_f64_e32 v[38:39], s[12:13], v[42:43]
	;; [unrolled: 1-line block ×3, first 2 shown]
	v_add_f64 v[42:43], v[82:83], v[40:41]
	v_add_f64 v[30:31], v[0:1], v[82:83]
	v_fmac_f64_e32 v[0:1], -0.5, v[42:43]
	v_fma_f64 v[58:59], s[14:15], v[36:37], v[0:1]
	v_add_f64 v[42:43], v[72:73], -v[82:83]
	v_add_f64 v[60:61], v[80:81], -v[40:41]
	v_fmac_f64_e32 v[0:1], s[10:11], v[36:37]
	v_add_f64 v[30:31], v[30:31], v[72:73]
	v_fmac_f64_e32 v[58:59], s[4:5], v[32:33]
	v_add_f64 v[42:43], v[42:43], v[60:61]
	;; [unrolled: 2-line block ×3, first 2 shown]
	v_add_f64 v[30:31], v[30:31], v[80:81]
	v_fmac_f64_e32 v[58:59], s[12:13], v[42:43]
	v_fmac_f64_e32 v[0:1], s[12:13], v[42:43]
	v_fma_f64 v[36:37], -0.5, v[36:37], v[2:3]
	v_add_f64 v[42:43], v[82:83], -v[40:41]
	v_add_f64 v[30:31], v[30:31], v[40:41]
	v_fma_f64 v[40:41], s[14:15], v[42:43], v[36:37]
	v_add_f64 v[62:63], v[72:73], -v[80:81]
	v_add_f64 v[60:61], v[70:71], -v[78:79]
	;; [unrolled: 1-line block ×3, first 2 shown]
	v_fmac_f64_e32 v[36:37], s[10:11], v[42:43]
	v_fmac_f64_e32 v[40:41], s[16:17], v[62:63]
	v_add_f64 v[60:61], v[60:61], v[64:65]
	v_fmac_f64_e32 v[36:37], s[4:5], v[62:63]
	v_fmac_f64_e32 v[40:41], s[12:13], v[60:61]
	;; [unrolled: 1-line block ×3, first 2 shown]
	v_add_f64 v[60:61], v[70:71], v[86:87]
	v_add_f64 v[32:33], v[2:3], v[70:71]
	v_fmac_f64_e32 v[2:3], -0.5, v[60:61]
	v_add_f64 v[16:17], v[16:17], v[66:67]
	v_fma_f64 v[60:61], s[10:11], v[62:63], v[2:3]
	v_add_f64 v[64:65], v[78:79], -v[70:71]
	v_add_f64 v[66:67], v[84:85], -v[86:87]
	v_fmac_f64_e32 v[2:3], s[14:15], v[62:63]
	v_add_f64 v[16:17], v[16:17], v[74:75]
	v_add_f64 v[32:33], v[32:33], v[78:79]
	;; [unrolled: 1-line block ×3, first 2 shown]
	v_fmac_f64_e32 v[2:3], s[4:5], v[42:43]
	v_add_f64 v[16:17], v[16:17], v[76:77]
	v_add_f64 v[32:33], v[32:33], v[84:85]
	v_fmac_f64_e32 v[60:61], s[16:17], v[42:43]
	v_fmac_f64_e32 v[2:3], s[12:13], v[64:65]
	v_add_f64 v[32:33], v[32:33], v[86:87]
	v_fmac_f64_e32 v[60:61], s[12:13], v[64:65]
	ds_write_b128 v53, v[14:17]
	ds_write_b128 v53, v[22:25] offset:3520
	ds_write_b128 v53, v[26:29] offset:7040
	;; [unrolled: 1-line block ×4, first 2 shown]
	ds_write_b128 v12, v[30:33]
	ds_write_b128 v12, v[38:41] offset:3520
	ds_write_b128 v12, v[58:61] offset:7040
	;; [unrolled: 1-line block ×4, first 2 shown]
	s_waitcnt lgkmcnt(0)
	s_barrier
	ds_read_b128 v[0:3], v53
	s_add_u32 s4, s8, 0x44a0
	s_addc_u32 s5, s9, 0
                                        ; implicit-def: $vgpr6_vgpr7
                                        ; implicit-def: $vgpr4_vgpr5
	s_and_saveexec_b64 s[8:9], vcc
	s_xor_b64 s[8:9], exec, s[8:9]
	s_cbranch_execz .LBB0_19
; %bb.18:
	v_mov_b32_e32 v49, v9
	v_lshl_add_u64 v[4:5], v[48:49], 4, s[4:5]
	global_load_dwordx4 v[14:17], v[4:5], off
	ds_read_b128 v[4:7], v8 offset:17600
	s_waitcnt lgkmcnt(0)
	v_add_f64 v[18:19], v[0:1], v[4:5]
	v_add_f64 v[20:21], v[2:3], v[6:7]
	v_add_f64 v[0:1], v[0:1], -v[4:5]
	v_add_f64 v[2:3], v[2:3], -v[6:7]
	v_mul_f64 v[6:7], v[20:21], 0.5
	v_mul_f64 v[0:1], v[0:1], 0.5
	;; [unrolled: 1-line block ×3, first 2 shown]
	s_waitcnt vmcnt(0)
	v_mul_f64 v[20:21], v[0:1], v[16:17]
	v_fma_f64 v[22:23], v[6:7], v[16:17], v[2:3]
	v_fma_f64 v[2:3], v[6:7], v[16:17], -v[2:3]
	v_fma_f64 v[4:5], 0.5, v[18:19], v[20:21]
	v_fma_f64 v[16:17], -v[14:15], v[0:1], v[22:23]
	v_fma_f64 v[18:19], v[18:19], 0.5, -v[20:21]
	v_fma_f64 v[0:1], -v[14:15], v[0:1], v[2:3]
	v_fmac_f64_e32 v[4:5], v[6:7], v[14:15]
	ds_write_b64 v53, v[16:17] offset:8
	v_fma_f64 v[6:7], -v[6:7], v[14:15], v[18:19]
	ds_write_b64 v8, v[0:1] offset:17608
                                        ; implicit-def: $vgpr0_vgpr1
.LBB0_19:
	s_or_saveexec_b64 s[8:9], s[8:9]
	v_sub_u32_e32 v9, 0, v51
	s_xor_b64 exec, exec, s[8:9]
	s_cbranch_execz .LBB0_21
; %bb.20:
	s_mov_b32 s10, 0
	s_mov_b32 s11, s10
	v_mov_b64_e32 v[4:5], s[10:11]
	ds_write_b64 v53, v[4:5] offset:8
	ds_write_b64 v8, v[4:5] offset:17608
	v_mov_b32_e32 v13, 0
	ds_read_b64 v[14:15], v13 offset:8808
	s_waitcnt lgkmcnt(3)
	v_add_f64 v[4:5], v[0:1], v[2:3]
	v_add_f64 v[6:7], v[0:1], -v[2:3]
	s_waitcnt lgkmcnt(0)
	v_xor_b32_e32 v15, 0x80000000, v15
	ds_write_b64 v13, v[14:15] offset:8808
.LBB0_21:
	s_or_b64 exec, exec, s[8:9]
	v_mov_b32_e32 v51, 0
	s_waitcnt lgkmcnt(0)
	v_lshl_add_u64 v[0:1], v[50:51], 4, s[4:5]
	global_load_dwordx4 v[0:3], v[0:1], off
	v_mov_b32_e32 v57, v51
	v_lshl_add_u64 v[14:15], v[56:57], 4, s[4:5]
	global_load_dwordx4 v[14:17], v[14:15], off
	v_mov_b32_e32 v55, v51
	v_lshl_add_u64 v[18:19], v[54:55], 4, s[4:5]
	global_load_dwordx4 v[18:21], v[18:19], off
	ds_write_b64 v53, v[4:5]
	ds_write_b64 v8, v[6:7] offset:17600
	v_mov_b32_e32 v53, v51
	v_lshl_add_u64 v[26:27], v[52:53], 4, s[4:5]
	ds_read_b128 v[4:7], v12
	ds_read_b128 v[22:25], v8 offset:15840
	global_load_dwordx4 v[26:29], v[26:27], off
	v_add_u32_e32 v9, v118, v9
	s_waitcnt lgkmcnt(0)
	v_add_f64 v[30:31], v[4:5], v[22:23]
	v_add_f64 v[32:33], v[6:7], v[24:25]
	v_add_f64 v[4:5], v[4:5], -v[22:23]
	v_add_f64 v[6:7], v[6:7], -v[24:25]
	v_mul_f64 v[22:23], v[32:33], 0.5
	v_mul_f64 v[4:5], v[4:5], 0.5
	v_mul_f64 v[6:7], v[6:7], 0.5
	s_waitcnt vmcnt(3)
	v_mul_f64 v[24:25], v[4:5], v[2:3]
	v_fma_f64 v[32:33], v[22:23], v[2:3], v[6:7]
	v_fma_f64 v[2:3], v[22:23], v[2:3], -v[6:7]
	v_fma_f64 v[6:7], 0.5, v[30:31], v[24:25]
	v_fma_f64 v[32:33], -v[0:1], v[4:5], v[32:33]
	v_fma_f64 v[24:25], v[30:31], 0.5, -v[24:25]
	v_fma_f64 v[2:3], -v[0:1], v[4:5], v[2:3]
	v_fmac_f64_e32 v[6:7], v[22:23], v[0:1]
	ds_write_b64 v12, v[32:33] offset:8
	v_fma_f64 v[0:1], -v[22:23], v[0:1], v[24:25]
	ds_write_b64 v8, v[2:3] offset:15848
	ds_write_b64 v12, v[6:7]
	ds_write_b64 v8, v[0:1] offset:15840
	ds_read_b128 v[0:3], v11
	ds_read_b128 v[4:7], v8 offset:14080
	s_waitcnt lgkmcnt(0)
	v_add_f64 v[12:13], v[0:1], v[4:5]
	v_add_f64 v[22:23], v[2:3], v[6:7]
	v_add_f64 v[0:1], v[0:1], -v[4:5]
	v_add_f64 v[2:3], v[2:3], -v[6:7]
	v_mul_f64 v[4:5], v[22:23], 0.5
	v_mul_f64 v[0:1], v[0:1], 0.5
	v_mul_f64 v[2:3], v[2:3], 0.5
	s_waitcnt vmcnt(2)
	v_mul_f64 v[6:7], v[0:1], v[16:17]
	v_fma_f64 v[22:23], v[4:5], v[16:17], v[2:3]
	v_fma_f64 v[2:3], v[4:5], v[16:17], -v[2:3]
	v_fma_f64 v[16:17], 0.5, v[12:13], v[6:7]
	v_fma_f64 v[22:23], -v[14:15], v[0:1], v[22:23]
	v_fma_f64 v[6:7], v[12:13], 0.5, -v[6:7]
	v_fma_f64 v[0:1], -v[14:15], v[0:1], v[2:3]
	v_fmac_f64_e32 v[16:17], v[4:5], v[14:15]
	ds_write_b64 v11, v[22:23] offset:8
	v_fma_f64 v[2:3], -v[4:5], v[14:15], v[6:7]
	ds_write_b64 v8, v[0:1] offset:14088
	ds_write_b64 v11, v[16:17]
	ds_write_b64 v8, v[2:3] offset:14080
	ds_read_b128 v[0:3], v9
	ds_read_b128 v[4:7], v8 offset:12320
	s_waitcnt lgkmcnt(0)
	v_add_f64 v[12:13], v[0:1], v[4:5]
	v_add_f64 v[14:15], v[2:3], v[6:7]
	v_add_f64 v[0:1], v[0:1], -v[4:5]
	v_add_f64 v[2:3], v[2:3], -v[6:7]
	v_mul_f64 v[4:5], v[14:15], 0.5
	v_mul_f64 v[0:1], v[0:1], 0.5
	v_mul_f64 v[2:3], v[2:3], 0.5
	s_waitcnt vmcnt(1)
	v_mul_f64 v[6:7], v[0:1], v[20:21]
	v_fma_f64 v[14:15], v[4:5], v[20:21], v[2:3]
	v_fma_f64 v[2:3], v[4:5], v[20:21], -v[2:3]
	v_fma_f64 v[16:17], 0.5, v[12:13], v[6:7]
	v_fma_f64 v[14:15], -v[18:19], v[0:1], v[14:15]
	v_fma_f64 v[6:7], v[12:13], 0.5, -v[6:7]
	v_fma_f64 v[0:1], -v[18:19], v[0:1], v[2:3]
	v_fmac_f64_e32 v[16:17], v[4:5], v[18:19]
	ds_write_b64 v9, v[14:15] offset:8
	v_fma_f64 v[2:3], -v[4:5], v[18:19], v[6:7]
	ds_write_b64 v8, v[0:1] offset:12328
	ds_write_b64 v9, v[16:17]
	ds_write_b64 v8, v[2:3] offset:12320
	ds_read_b128 v[0:3], v10
	ds_read_b128 v[4:7], v8 offset:10560
	s_waitcnt lgkmcnt(0)
	v_add_f64 v[12:13], v[0:1], v[4:5]
	v_add_f64 v[14:15], v[2:3], v[6:7]
	v_add_f64 v[0:1], v[0:1], -v[4:5]
	v_add_f64 v[2:3], v[2:3], -v[6:7]
	v_mul_f64 v[4:5], v[14:15], 0.5
	v_mul_f64 v[0:1], v[0:1], 0.5
	;; [unrolled: 1-line block ×3, first 2 shown]
	s_waitcnt vmcnt(0)
	v_mul_f64 v[6:7], v[0:1], v[28:29]
	v_fma_f64 v[14:15], v[4:5], v[28:29], v[2:3]
	v_fma_f64 v[2:3], v[4:5], v[28:29], -v[2:3]
	v_fma_f64 v[16:17], 0.5, v[12:13], v[6:7]
	v_fma_f64 v[14:15], -v[26:27], v[0:1], v[14:15]
	v_fma_f64 v[6:7], v[12:13], 0.5, -v[6:7]
	v_fma_f64 v[0:1], -v[26:27], v[0:1], v[2:3]
	v_fmac_f64_e32 v[16:17], v[4:5], v[26:27]
	ds_write_b64 v10, v[14:15] offset:8
	v_fma_f64 v[2:3], -v[4:5], v[26:27], v[6:7]
	ds_write_b64 v8, v[0:1] offset:10568
	ds_write_b64 v10, v[16:17]
	ds_write_b64 v8, v[2:3] offset:10560
	s_waitcnt lgkmcnt(0)
	s_barrier
	s_and_saveexec_b64 s[4:5], s[0:1]
	s_cbranch_execz .LBB0_24
; %bb.22:
	v_mul_lo_u32 v2, s3, v46
	v_mul_lo_u32 v3, s2, v47
	v_mad_u64_u32 v[0:1], s[0:1], s2, v46, 0
	v_lshl_add_u32 v12, v48, 4, 0
	v_add3_u32 v1, v1, v3, v2
	ds_read_b128 v[2:5], v12
	ds_read_b128 v[6:9], v12 offset:1760
	v_lshl_add_u64 v[0:1], v[0:1], 4, s[6:7]
	v_mov_b32_e32 v49, v51
	v_lshl_add_u64 v[0:1], v[44:45], 4, v[0:1]
	v_lshl_add_u64 v[10:11], v[48:49], 4, v[0:1]
	v_add_u32_e32 v50, 0x6e, v48
	s_waitcnt lgkmcnt(1)
	global_store_dwordx4 v[10:11], v[2:5], off
	v_lshl_add_u64 v[10:11], v[50:51], 4, v[0:1]
	ds_read_b128 v[2:5], v12 offset:3520
	s_waitcnt lgkmcnt(1)
	global_store_dwordx4 v[10:11], v[6:9], off
	ds_read_b128 v[6:9], v12 offset:5280
	v_add_u32_e32 v50, 0xdc, v48
	v_lshl_add_u64 v[10:11], v[50:51], 4, v[0:1]
	v_add_u32_e32 v50, 0x14a, v48
	s_waitcnt lgkmcnt(1)
	global_store_dwordx4 v[10:11], v[2:5], off
	v_lshl_add_u64 v[10:11], v[50:51], 4, v[0:1]
	ds_read_b128 v[2:5], v12 offset:7040
	s_waitcnt lgkmcnt(1)
	global_store_dwordx4 v[10:11], v[6:9], off
	ds_read_b128 v[6:9], v12 offset:8800
	v_add_u32_e32 v50, 0x1b8, v48
	;; [unrolled: 10-line block ×4, first 2 shown]
	v_lshl_add_u64 v[10:11], v[50:51], 4, v[0:1]
	v_add_u32_e32 v50, 0x3de, v48
	s_movk_i32 s0, 0x6d
	s_waitcnt lgkmcnt(1)
	global_store_dwordx4 v[10:11], v[2:5], off
	v_cmp_eq_u32_e32 vcc, s0, v48
	s_nop 0
	v_lshl_add_u64 v[2:3], v[50:51], 4, v[0:1]
	s_waitcnt lgkmcnt(0)
	global_store_dwordx4 v[2:3], v[6:9], off
	s_and_b64 exec, exec, vcc
	s_cbranch_execz .LBB0_24
; %bb.23:
	v_mov_b32_e32 v2, 0
	ds_read_b128 v[2:5], v2 offset:17600
	v_add_co_u32_e32 v0, vcc, 0x4000, v0
	s_nop 1
	v_addc_co_u32_e32 v1, vcc, 0, v1, vcc
	s_waitcnt lgkmcnt(0)
	global_store_dwordx4 v[0:1], v[2:5], off offset:1216
.LBB0_24:
	s_endpgm
	.section	.rodata,"a",@progbits
	.p2align	6, 0x0
	.amdhsa_kernel fft_rtc_back_len1100_factors_2_2_11_5_5_wgs_110_tpt_110_dp_op_CI_CI_unitstride_sbrr_R2C_dirReg
		.amdhsa_group_segment_fixed_size 0
		.amdhsa_private_segment_fixed_size 0
		.amdhsa_kernarg_size 104
		.amdhsa_user_sgpr_count 2
		.amdhsa_user_sgpr_dispatch_ptr 0
		.amdhsa_user_sgpr_queue_ptr 0
		.amdhsa_user_sgpr_kernarg_segment_ptr 1
		.amdhsa_user_sgpr_dispatch_id 0
		.amdhsa_user_sgpr_kernarg_preload_length 0
		.amdhsa_user_sgpr_kernarg_preload_offset 0
		.amdhsa_user_sgpr_private_segment_size 0
		.amdhsa_uses_dynamic_stack 0
		.amdhsa_enable_private_segment 0
		.amdhsa_system_sgpr_workgroup_id_x 1
		.amdhsa_system_sgpr_workgroup_id_y 0
		.amdhsa_system_sgpr_workgroup_id_z 0
		.amdhsa_system_sgpr_workgroup_info 0
		.amdhsa_system_vgpr_workitem_id 0
		.amdhsa_next_free_vgpr 154
		.amdhsa_next_free_sgpr 38
		.amdhsa_accum_offset 156
		.amdhsa_reserve_vcc 1
		.amdhsa_float_round_mode_32 0
		.amdhsa_float_round_mode_16_64 0
		.amdhsa_float_denorm_mode_32 3
		.amdhsa_float_denorm_mode_16_64 3
		.amdhsa_dx10_clamp 1
		.amdhsa_ieee_mode 1
		.amdhsa_fp16_overflow 0
		.amdhsa_tg_split 0
		.amdhsa_exception_fp_ieee_invalid_op 0
		.amdhsa_exception_fp_denorm_src 0
		.amdhsa_exception_fp_ieee_div_zero 0
		.amdhsa_exception_fp_ieee_overflow 0
		.amdhsa_exception_fp_ieee_underflow 0
		.amdhsa_exception_fp_ieee_inexact 0
		.amdhsa_exception_int_div_zero 0
	.end_amdhsa_kernel
	.text
.Lfunc_end0:
	.size	fft_rtc_back_len1100_factors_2_2_11_5_5_wgs_110_tpt_110_dp_op_CI_CI_unitstride_sbrr_R2C_dirReg, .Lfunc_end0-fft_rtc_back_len1100_factors_2_2_11_5_5_wgs_110_tpt_110_dp_op_CI_CI_unitstride_sbrr_R2C_dirReg
                                        ; -- End function
	.section	.AMDGPU.csdata,"",@progbits
; Kernel info:
; codeLenInByte = 10100
; NumSgprs: 44
; NumVgprs: 154
; NumAgprs: 0
; TotalNumVgprs: 154
; ScratchSize: 0
; MemoryBound: 0
; FloatMode: 240
; IeeeMode: 1
; LDSByteSize: 0 bytes/workgroup (compile time only)
; SGPRBlocks: 5
; VGPRBlocks: 19
; NumSGPRsForWavesPerEU: 44
; NumVGPRsForWavesPerEU: 154
; AccumOffset: 156
; Occupancy: 3
; WaveLimiterHint : 1
; COMPUTE_PGM_RSRC2:SCRATCH_EN: 0
; COMPUTE_PGM_RSRC2:USER_SGPR: 2
; COMPUTE_PGM_RSRC2:TRAP_HANDLER: 0
; COMPUTE_PGM_RSRC2:TGID_X_EN: 1
; COMPUTE_PGM_RSRC2:TGID_Y_EN: 0
; COMPUTE_PGM_RSRC2:TGID_Z_EN: 0
; COMPUTE_PGM_RSRC2:TIDIG_COMP_CNT: 0
; COMPUTE_PGM_RSRC3_GFX90A:ACCUM_OFFSET: 38
; COMPUTE_PGM_RSRC3_GFX90A:TG_SPLIT: 0
	.text
	.p2alignl 6, 3212836864
	.fill 256, 4, 3212836864
	.type	__hip_cuid_e25b263bf750b29b,@object ; @__hip_cuid_e25b263bf750b29b
	.section	.bss,"aw",@nobits
	.globl	__hip_cuid_e25b263bf750b29b
__hip_cuid_e25b263bf750b29b:
	.byte	0                               ; 0x0
	.size	__hip_cuid_e25b263bf750b29b, 1

	.ident	"AMD clang version 19.0.0git (https://github.com/RadeonOpenCompute/llvm-project roc-6.4.0 25133 c7fe45cf4b819c5991fe208aaa96edf142730f1d)"
	.section	".note.GNU-stack","",@progbits
	.addrsig
	.addrsig_sym __hip_cuid_e25b263bf750b29b
	.amdgpu_metadata
---
amdhsa.kernels:
  - .agpr_count:     0
    .args:
      - .actual_access:  read_only
        .address_space:  global
        .offset:         0
        .size:           8
        .value_kind:     global_buffer
      - .offset:         8
        .size:           8
        .value_kind:     by_value
      - .actual_access:  read_only
        .address_space:  global
        .offset:         16
        .size:           8
        .value_kind:     global_buffer
      - .actual_access:  read_only
        .address_space:  global
        .offset:         24
        .size:           8
        .value_kind:     global_buffer
      - .actual_access:  read_only
        .address_space:  global
        .offset:         32
        .size:           8
        .value_kind:     global_buffer
      - .offset:         40
        .size:           8
        .value_kind:     by_value
      - .actual_access:  read_only
        .address_space:  global
        .offset:         48
        .size:           8
        .value_kind:     global_buffer
      - .actual_access:  read_only
        .address_space:  global
        .offset:         56
        .size:           8
        .value_kind:     global_buffer
      - .offset:         64
        .size:           4
        .value_kind:     by_value
      - .actual_access:  read_only
        .address_space:  global
        .offset:         72
        .size:           8
        .value_kind:     global_buffer
      - .actual_access:  read_only
        .address_space:  global
        .offset:         80
        .size:           8
        .value_kind:     global_buffer
      - .actual_access:  read_only
        .address_space:  global
        .offset:         88
        .size:           8
        .value_kind:     global_buffer
      - .actual_access:  write_only
        .address_space:  global
        .offset:         96
        .size:           8
        .value_kind:     global_buffer
    .group_segment_fixed_size: 0
    .kernarg_segment_align: 8
    .kernarg_segment_size: 104
    .language:       OpenCL C
    .language_version:
      - 2
      - 0
    .max_flat_workgroup_size: 110
    .name:           fft_rtc_back_len1100_factors_2_2_11_5_5_wgs_110_tpt_110_dp_op_CI_CI_unitstride_sbrr_R2C_dirReg
    .private_segment_fixed_size: 0
    .sgpr_count:     44
    .sgpr_spill_count: 0
    .symbol:         fft_rtc_back_len1100_factors_2_2_11_5_5_wgs_110_tpt_110_dp_op_CI_CI_unitstride_sbrr_R2C_dirReg.kd
    .uniform_work_group_size: 1
    .uses_dynamic_stack: false
    .vgpr_count:     154
    .vgpr_spill_count: 0
    .wavefront_size: 64
amdhsa.target:   amdgcn-amd-amdhsa--gfx950
amdhsa.version:
  - 1
  - 2
...

	.end_amdgpu_metadata
